;; amdgpu-corpus repo=ROCm/rocFFT kind=compiled arch=gfx906 opt=O3
	.text
	.amdgcn_target "amdgcn-amd-amdhsa--gfx906"
	.amdhsa_code_object_version 6
	.protected	fft_rtc_back_len432_factors_3_16_3_3_wgs_54_tpt_27_halfLds_dp_op_CI_CI_unitstride_sbrr_R2C_dirReg ; -- Begin function fft_rtc_back_len432_factors_3_16_3_3_wgs_54_tpt_27_halfLds_dp_op_CI_CI_unitstride_sbrr_R2C_dirReg
	.globl	fft_rtc_back_len432_factors_3_16_3_3_wgs_54_tpt_27_halfLds_dp_op_CI_CI_unitstride_sbrr_R2C_dirReg
	.p2align	8
	.type	fft_rtc_back_len432_factors_3_16_3_3_wgs_54_tpt_27_halfLds_dp_op_CI_CI_unitstride_sbrr_R2C_dirReg,@function
fft_rtc_back_len432_factors_3_16_3_3_wgs_54_tpt_27_halfLds_dp_op_CI_CI_unitstride_sbrr_R2C_dirReg: ; @fft_rtc_back_len432_factors_3_16_3_3_wgs_54_tpt_27_halfLds_dp_op_CI_CI_unitstride_sbrr_R2C_dirReg
; %bb.0:
	s_load_dwordx4 s[8:11], s[4:5], 0x58
	s_load_dwordx4 s[12:15], s[4:5], 0x0
	;; [unrolled: 1-line block ×3, first 2 shown]
	v_mul_u32_u24_e32 v1, 0x97c, v0
	v_lshrrev_b32_e32 v7, 16, v1
	v_mov_b32_e32 v3, 0
	s_waitcnt lgkmcnt(0)
	v_cmp_lt_u64_e64 s[0:1], s[14:15], 2
	v_mov_b32_e32 v1, 0
	v_lshl_add_u32 v5, s6, 1, v7
	v_mov_b32_e32 v6, v3
	s_and_b64 vcc, exec, s[0:1]
	v_mov_b32_e32 v2, 0
	s_cbranch_vccnz .LBB0_8
; %bb.1:
	s_load_dwordx2 s[0:1], s[4:5], 0x10
	s_add_u32 s2, s18, 8
	s_addc_u32 s3, s19, 0
	s_add_u32 s6, s16, 8
	v_mov_b32_e32 v1, 0
	s_addc_u32 s7, s17, 0
	v_mov_b32_e32 v2, 0
	s_waitcnt lgkmcnt(0)
	s_add_u32 s20, s0, 8
	v_mov_b32_e32 v73, v2
	s_addc_u32 s21, s1, 0
	s_mov_b64 s[22:23], 1
	v_mov_b32_e32 v72, v1
.LBB0_2:                                ; =>This Inner Loop Header: Depth=1
	s_load_dwordx2 s[24:25], s[20:21], 0x0
                                        ; implicit-def: $vgpr76_vgpr77
	s_waitcnt lgkmcnt(0)
	v_or_b32_e32 v4, s25, v6
	v_cmp_ne_u64_e32 vcc, 0, v[3:4]
	s_and_saveexec_b64 s[0:1], vcc
	s_xor_b64 s[26:27], exec, s[0:1]
	s_cbranch_execz .LBB0_4
; %bb.3:                                ;   in Loop: Header=BB0_2 Depth=1
	v_cvt_f32_u32_e32 v4, s24
	v_cvt_f32_u32_e32 v8, s25
	s_sub_u32 s0, 0, s24
	s_subb_u32 s1, 0, s25
	v_mac_f32_e32 v4, 0x4f800000, v8
	v_rcp_f32_e32 v4, v4
	v_mul_f32_e32 v4, 0x5f7ffffc, v4
	v_mul_f32_e32 v8, 0x2f800000, v4
	v_trunc_f32_e32 v8, v8
	v_mac_f32_e32 v4, 0xcf800000, v8
	v_cvt_u32_f32_e32 v8, v8
	v_cvt_u32_f32_e32 v4, v4
	v_mul_lo_u32 v9, s0, v8
	v_mul_hi_u32 v10, s0, v4
	v_mul_lo_u32 v12, s1, v4
	v_mul_lo_u32 v11, s0, v4
	v_add_u32_e32 v9, v10, v9
	v_add_u32_e32 v9, v9, v12
	v_mul_hi_u32 v10, v4, v11
	v_mul_lo_u32 v12, v4, v9
	v_mul_hi_u32 v14, v4, v9
	v_mul_hi_u32 v13, v8, v11
	v_mul_lo_u32 v11, v8, v11
	v_mul_hi_u32 v15, v8, v9
	v_add_co_u32_e32 v10, vcc, v10, v12
	v_addc_co_u32_e32 v12, vcc, 0, v14, vcc
	v_mul_lo_u32 v9, v8, v9
	v_add_co_u32_e32 v10, vcc, v10, v11
	v_addc_co_u32_e32 v10, vcc, v12, v13, vcc
	v_addc_co_u32_e32 v11, vcc, 0, v15, vcc
	v_add_co_u32_e32 v9, vcc, v10, v9
	v_addc_co_u32_e32 v10, vcc, 0, v11, vcc
	v_add_co_u32_e32 v4, vcc, v4, v9
	v_addc_co_u32_e32 v8, vcc, v8, v10, vcc
	v_mul_lo_u32 v9, s0, v8
	v_mul_hi_u32 v10, s0, v4
	v_mul_lo_u32 v11, s1, v4
	v_mul_lo_u32 v12, s0, v4
	v_add_u32_e32 v9, v10, v9
	v_add_u32_e32 v9, v9, v11
	v_mul_lo_u32 v13, v4, v9
	v_mul_hi_u32 v14, v4, v12
	v_mul_hi_u32 v15, v4, v9
	;; [unrolled: 1-line block ×3, first 2 shown]
	v_mul_lo_u32 v12, v8, v12
	v_mul_hi_u32 v10, v8, v9
	v_add_co_u32_e32 v13, vcc, v14, v13
	v_addc_co_u32_e32 v14, vcc, 0, v15, vcc
	v_mul_lo_u32 v9, v8, v9
	v_add_co_u32_e32 v12, vcc, v13, v12
	v_addc_co_u32_e32 v11, vcc, v14, v11, vcc
	v_addc_co_u32_e32 v10, vcc, 0, v10, vcc
	v_add_co_u32_e32 v9, vcc, v11, v9
	v_addc_co_u32_e32 v10, vcc, 0, v10, vcc
	v_add_co_u32_e32 v4, vcc, v4, v9
	v_addc_co_u32_e32 v10, vcc, v8, v10, vcc
	v_mad_u64_u32 v[8:9], s[0:1], v5, v10, 0
	v_mul_hi_u32 v11, v5, v4
	v_add_co_u32_e32 v12, vcc, v11, v8
	v_addc_co_u32_e32 v13, vcc, 0, v9, vcc
	v_mad_u64_u32 v[8:9], s[0:1], v6, v4, 0
	v_mad_u64_u32 v[10:11], s[0:1], v6, v10, 0
	v_add_co_u32_e32 v4, vcc, v12, v8
	v_addc_co_u32_e32 v4, vcc, v13, v9, vcc
	v_addc_co_u32_e32 v8, vcc, 0, v11, vcc
	v_add_co_u32_e32 v4, vcc, v4, v10
	v_addc_co_u32_e32 v10, vcc, 0, v8, vcc
	v_mul_lo_u32 v11, s25, v4
	v_mul_lo_u32 v12, s24, v10
	v_mad_u64_u32 v[8:9], s[0:1], s24, v4, 0
	v_add3_u32 v9, v9, v12, v11
	v_sub_u32_e32 v11, v6, v9
	v_mov_b32_e32 v12, s25
	v_sub_co_u32_e32 v8, vcc, v5, v8
	v_subb_co_u32_e64 v11, s[0:1], v11, v12, vcc
	v_subrev_co_u32_e64 v12, s[0:1], s24, v8
	v_subbrev_co_u32_e64 v11, s[0:1], 0, v11, s[0:1]
	v_cmp_le_u32_e64 s[0:1], s25, v11
	v_cndmask_b32_e64 v13, 0, -1, s[0:1]
	v_cmp_le_u32_e64 s[0:1], s24, v12
	v_cndmask_b32_e64 v12, 0, -1, s[0:1]
	v_cmp_eq_u32_e64 s[0:1], s25, v11
	v_cndmask_b32_e64 v11, v13, v12, s[0:1]
	v_add_co_u32_e64 v12, s[0:1], 2, v4
	v_addc_co_u32_e64 v13, s[0:1], 0, v10, s[0:1]
	v_add_co_u32_e64 v14, s[0:1], 1, v4
	v_addc_co_u32_e64 v15, s[0:1], 0, v10, s[0:1]
	v_subb_co_u32_e32 v9, vcc, v6, v9, vcc
	v_cmp_ne_u32_e64 s[0:1], 0, v11
	v_cmp_le_u32_e32 vcc, s25, v9
	v_cndmask_b32_e64 v11, v15, v13, s[0:1]
	v_cndmask_b32_e64 v13, 0, -1, vcc
	v_cmp_le_u32_e32 vcc, s24, v8
	v_cndmask_b32_e64 v8, 0, -1, vcc
	v_cmp_eq_u32_e32 vcc, s25, v9
	v_cndmask_b32_e32 v8, v13, v8, vcc
	v_cmp_ne_u32_e32 vcc, 0, v8
	v_cndmask_b32_e64 v8, v14, v12, s[0:1]
	v_cndmask_b32_e32 v77, v10, v11, vcc
	v_cndmask_b32_e32 v76, v4, v8, vcc
.LBB0_4:                                ;   in Loop: Header=BB0_2 Depth=1
	s_andn2_saveexec_b64 s[0:1], s[26:27]
	s_cbranch_execz .LBB0_6
; %bb.5:                                ;   in Loop: Header=BB0_2 Depth=1
	v_cvt_f32_u32_e32 v4, s24
	s_sub_i32 s26, 0, s24
	v_mov_b32_e32 v77, v3
	v_rcp_iflag_f32_e32 v4, v4
	v_mul_f32_e32 v4, 0x4f7ffffe, v4
	v_cvt_u32_f32_e32 v4, v4
	v_mul_lo_u32 v8, s26, v4
	v_mul_hi_u32 v8, v4, v8
	v_add_u32_e32 v4, v4, v8
	v_mul_hi_u32 v4, v5, v4
	v_mul_lo_u32 v8, v4, s24
	v_add_u32_e32 v9, 1, v4
	v_sub_u32_e32 v8, v5, v8
	v_subrev_u32_e32 v10, s24, v8
	v_cmp_le_u32_e32 vcc, s24, v8
	v_cndmask_b32_e32 v8, v8, v10, vcc
	v_cndmask_b32_e32 v4, v4, v9, vcc
	v_add_u32_e32 v9, 1, v4
	v_cmp_le_u32_e32 vcc, s24, v8
	v_cndmask_b32_e32 v76, v4, v9, vcc
.LBB0_6:                                ;   in Loop: Header=BB0_2 Depth=1
	s_or_b64 exec, exec, s[0:1]
	v_mul_lo_u32 v4, v77, s24
	v_mul_lo_u32 v10, v76, s25
	v_mad_u64_u32 v[8:9], s[0:1], v76, s24, 0
	s_load_dwordx2 s[0:1], s[6:7], 0x0
	s_load_dwordx2 s[24:25], s[2:3], 0x0
	v_add3_u32 v4, v9, v10, v4
	v_sub_co_u32_e32 v5, vcc, v5, v8
	v_subb_co_u32_e32 v4, vcc, v6, v4, vcc
	s_waitcnt lgkmcnt(0)
	v_mul_lo_u32 v6, s0, v4
	v_mul_lo_u32 v8, s1, v5
	v_mad_u64_u32 v[1:2], s[0:1], s0, v5, v[1:2]
	v_mul_lo_u32 v4, s24, v4
	v_mul_lo_u32 v9, s25, v5
	v_mad_u64_u32 v[72:73], s[0:1], s24, v5, v[72:73]
	s_add_u32 s22, s22, 1
	s_addc_u32 s23, s23, 0
	s_add_u32 s2, s2, 8
	v_add3_u32 v73, v9, v73, v4
	s_addc_u32 s3, s3, 0
	v_mov_b32_e32 v4, s14
	s_add_u32 s6, s6, 8
	v_mov_b32_e32 v5, s15
	s_addc_u32 s7, s7, 0
	v_cmp_ge_u64_e32 vcc, s[22:23], v[4:5]
	s_add_u32 s20, s20, 8
	v_add3_u32 v2, v8, v2, v6
	s_addc_u32 s21, s21, 0
	s_cbranch_vccnz .LBB0_9
; %bb.7:                                ;   in Loop: Header=BB0_2 Depth=1
	v_mov_b32_e32 v5, v76
	v_mov_b32_e32 v6, v77
	s_branch .LBB0_2
.LBB0_8:
	v_mov_b32_e32 v73, v2
	v_mov_b32_e32 v77, v6
	;; [unrolled: 1-line block ×4, first 2 shown]
.LBB0_9:
	s_load_dwordx2 s[2:3], s[4:5], 0x28
	s_lshl_b64 s[6:7], s[14:15], 3
	s_add_u32 s4, s18, s6
	v_and_b32_e32 v3, 1, v7
	s_addc_u32 s5, s19, s7
	s_waitcnt lgkmcnt(0)
	v_cmp_gt_u64_e64 s[0:1], s[2:3], v[76:77]
	v_cmp_le_u64_e64 s[2:3], s[2:3], v[76:77]
	v_cmp_eq_u32_e32 vcc, 1, v3
	v_mov_b32_e32 v3, 0x1b1
                                        ; implicit-def: $vgpr74
                                        ; implicit-def: $vgpr78
                                        ; implicit-def: $vgpr86
                                        ; implicit-def: $vgpr84
                                        ; implicit-def: $vgpr82
                                        ; implicit-def: $vgpr80
	s_and_saveexec_b64 s[14:15], s[2:3]
	s_xor_b64 s[2:3], exec, s[14:15]
; %bb.10:
	s_mov_b32 s14, 0x97b425f
	v_mul_hi_u32 v1, v0, s14
	v_mul_u32_u24_e32 v1, 27, v1
	v_sub_u32_e32 v74, v0, v1
	v_add_u32_e32 v78, 27, v74
	v_add_u32_e32 v86, 54, v74
	;; [unrolled: 1-line block ×5, first 2 shown]
                                        ; implicit-def: $vgpr0
                                        ; implicit-def: $vgpr1_vgpr2
; %bb.11:
	s_or_saveexec_b64 s[2:3], s[2:3]
	v_cndmask_b32_e32 v3, 0, v3, vcc
	v_lshlrev_b32_e32 v94, 4, v3
	s_xor_b64 exec, exec, s[2:3]
	s_cbranch_execz .LBB0_13
; %bb.12:
	s_add_u32 s6, s16, s6
	s_addc_u32 s7, s17, s7
	s_load_dwordx2 s[6:7], s[6:7], 0x0
	s_mov_b32 s14, 0x97b425f
	v_mul_hi_u32 v5, v0, s14
	s_waitcnt lgkmcnt(0)
	v_mul_lo_u32 v6, s7, v76
	v_mul_lo_u32 v7, s6, v77
	v_mad_u64_u32 v[3:4], s[6:7], s6, v76, 0
	v_mul_u32_u24_e32 v5, 27, v5
	v_sub_u32_e32 v74, v0, v5
	v_add3_u32 v4, v4, v7, v6
	v_lshlrev_b64 v[3:4], 4, v[3:4]
	v_mov_b32_e32 v0, s9
	v_add_co_u32_e32 v3, vcc, s8, v3
	v_addc_co_u32_e32 v4, vcc, v0, v4, vcc
	v_lshlrev_b64 v[0:1], 4, v[1:2]
	v_lshlrev_b32_e32 v68, 4, v74
	v_add_co_u32_e32 v0, vcc, v3, v0
	v_addc_co_u32_e32 v1, vcc, v4, v1, vcc
	v_add_co_u32_e32 v64, vcc, v0, v68
	v_addc_co_u32_e32 v65, vcc, 0, v1, vcc
	s_movk_i32 s6, 0x1000
	v_add_co_u32_e32 v66, vcc, s6, v64
	global_load_dwordx4 v[0:3], v[64:65], off
	global_load_dwordx4 v[4:7], v[64:65], off offset:432
	global_load_dwordx4 v[8:11], v[64:65], off offset:864
	;; [unrolled: 1-line block ×7, first 2 shown]
	v_addc_co_u32_e32 v67, vcc, 0, v65, vcc
	global_load_dwordx4 v[32:35], v[64:65], off offset:3456
	global_load_dwordx4 v[36:39], v[64:65], off offset:3888
	;; [unrolled: 1-line block ×8, first 2 shown]
	v_add_u32_e32 v78, 27, v74
	v_add_u32_e32 v86, 54, v74
	;; [unrolled: 1-line block ×5, first 2 shown]
	v_add3_u32 v64, 0, v94, v68
	s_waitcnt vmcnt(15)
	ds_write_b128 v64, v[0:3]
	s_waitcnt vmcnt(14)
	ds_write_b128 v64, v[4:7] offset:432
	s_waitcnt vmcnt(13)
	ds_write_b128 v64, v[8:11] offset:864
	;; [unrolled: 2-line block ×15, first 2 shown]
.LBB0_13:
	s_or_b64 exec, exec, s[2:3]
	v_lshlrev_b32_e32 v75, 4, v74
	v_add_u32_e32 v0, 0, v75
	v_add_u32_e32 v91, 0, v94
	v_add_u32_e32 v79, v0, v94
	s_load_dwordx2 s[4:5], s[4:5], 0x0
	s_waitcnt lgkmcnt(0)
	; wave barrier
	s_waitcnt lgkmcnt(0)
	v_add_u32_e32 v92, v91, v75
	ds_read_b128 v[0:3], v79 offset:2304
	ds_read_b128 v[4:7], v92
	ds_read_b128 v[20:23], v79 offset:432
	ds_read_b128 v[8:11], v79 offset:2736
	ds_read_b128 v[12:15], v79 offset:4608
	ds_read_b128 v[16:19], v79 offset:5040
	ds_read_b128 v[28:31], v79 offset:3168
	s_waitcnt lgkmcnt(5)
	v_add_f64 v[24:25], v[4:5], v[0:1]
	v_add_f64 v[26:27], v[6:7], v[2:3]
	s_waitcnt lgkmcnt(3)
	v_add_f64 v[32:33], v[20:21], v[8:9]
	v_add_f64 v[34:35], v[22:23], v[10:11]
	s_waitcnt lgkmcnt(2)
	v_add_f64 v[60:61], v[0:1], v[12:13]
	v_add_f64 v[62:63], v[2:3], -v[14:15]
	v_add_f64 v[64:65], v[2:3], v[14:15]
	v_add_f64 v[66:67], v[0:1], -v[12:13]
	ds_read_b128 v[0:3], v79 offset:864
	v_add_f64 v[24:25], v[24:25], v[12:13]
	v_add_f64 v[26:27], v[26:27], v[14:15]
	ds_read_b128 v[36:39], v79 offset:1296
	ds_read_b128 v[40:43], v79 offset:3600
	;; [unrolled: 1-line block ×3, first 2 shown]
	s_waitcnt lgkmcnt(5)
	v_add_f64 v[32:33], v[32:33], v[16:17]
	v_add_f64 v[34:35], v[34:35], v[18:19]
	s_waitcnt lgkmcnt(3)
	v_add_f64 v[44:45], v[0:1], v[28:29]
	v_add_f64 v[46:47], v[2:3], v[30:31]
	;; [unrolled: 1-line block ×3, first 2 shown]
	v_add_f64 v[70:71], v[10:11], -v[18:19]
	v_add_f64 v[87:88], v[10:11], v[18:19]
	v_add_f64 v[89:90], v[8:9], -v[16:17]
	ds_read_b128 v[16:19], v79 offset:5904
	s_waitcnt lgkmcnt(2)
	v_add_f64 v[8:9], v[36:37], v[40:41]
	v_add_f64 v[10:11], v[38:39], v[42:43]
	s_waitcnt lgkmcnt(1)
	v_add_f64 v[95:96], v[28:29], v[12:13]
	v_add_f64 v[97:98], v[30:31], -v[14:15]
	v_add_f64 v[99:100], v[30:31], v[14:15]
	v_add_f64 v[101:102], v[28:29], -v[12:13]
	ds_read_b128 v[28:31], v79 offset:4032
	ds_read_b128 v[48:51], v79 offset:1728
	v_add_f64 v[44:45], v[44:45], v[12:13]
	v_add_f64 v[46:47], v[46:47], v[14:15]
	s_waitcnt lgkmcnt(2)
	v_add_f64 v[52:53], v[8:9], v[16:17]
	v_add_f64 v[54:55], v[10:11], v[18:19]
	s_waitcnt lgkmcnt(0)
	v_add_f64 v[105:106], v[50:51], v[30:31]
	ds_read_b128 v[8:11], v79 offset:2160
	ds_read_b128 v[12:15], v79 offset:4464
	;; [unrolled: 1-line block ×3, first 2 shown]
	v_add_f64 v[107:108], v[40:41], v[16:17]
	v_add_f64 v[109:110], v[42:43], -v[18:19]
	v_add_f64 v[111:112], v[42:43], v[18:19]
	v_add_f64 v[113:114], v[40:41], -v[16:17]
	ds_read_b128 v[16:19], v79 offset:6768
	s_waitcnt lgkmcnt(1)
	v_add_f64 v[42:43], v[105:106], v[58:59]
	v_add_f64 v[105:106], v[30:31], -v[58:59]
	v_fma_f64 v[60:61], v[60:61], -0.5, v[4:5]
	v_add_f64 v[58:59], v[30:31], v[58:59]
	v_fma_f64 v[30:31], v[64:65], -0.5, v[6:7]
	v_add_f64 v[103:104], v[48:49], v[28:29]
	s_mov_b32 s2, 0xe8584caa
	s_mov_b32 s3, 0xbfebb67a
	;; [unrolled: 1-line block ×4, first 2 shown]
	v_fma_f64 v[4:5], v[62:63], s[2:3], v[60:61]
	v_fma_f64 v[20:21], v[68:69], -0.5, v[20:21]
	v_fma_f64 v[6:7], v[66:67], s[6:7], v[30:31]
	v_fma_f64 v[22:23], v[87:88], -0.5, v[22:23]
	v_add_f64 v[40:41], v[103:104], v[56:57]
	v_add_f64 v[103:104], v[28:29], v[56:57]
	v_add_f64 v[56:57], v[28:29], -v[56:57]
	v_fma_f64 v[28:29], v[62:63], s[6:7], v[60:61]
	v_mad_u32_u24 v60, v74, 48, v91
	v_fma_f64 v[30:31], v[66:67], s[2:3], v[30:31]
	s_waitcnt lgkmcnt(0)
	; wave barrier
	s_waitcnt lgkmcnt(0)
	ds_write_b128 v60, v[24:27]
	ds_write_b128 v60, v[4:7] offset:16
	v_fma_f64 v[24:25], v[95:96], -0.5, v[0:1]
	v_fma_f64 v[26:27], v[99:100], -0.5, v[2:3]
	v_fma_f64 v[4:5], v[70:71], s[2:3], v[20:21]
	v_fma_f64 v[6:7], v[89:90], s[6:7], v[22:23]
	;; [unrolled: 1-line block ×4, first 2 shown]
	v_mad_i32_i24 v20, v78, 48, v91
	ds_write_b128 v60, v[28:31] offset:32
	ds_write_b128 v20, v[32:35]
	ds_write_b128 v20, v[4:7] offset:16
	v_fma_f64 v[4:5], v[97:98], s[2:3], v[24:25]
	v_fma_f64 v[6:7], v[101:102], s[6:7], v[26:27]
	;; [unrolled: 1-line block ×4, first 2 shown]
	ds_write_b128 v20, v[0:3] offset:32
	v_mad_i32_i24 v20, v86, 48, 0
	v_add_u32_e32 v0, v20, v94
	v_fma_f64 v[25:26], v[107:108], -0.5, v[36:37]
	v_fma_f64 v[27:28], v[111:112], -0.5, v[38:39]
	ds_write_b128 v0, v[44:47]
	ds_write_b128 v0, v[4:7] offset:16
	ds_write_b128 v0, v[21:24] offset:32
	v_add_f64 v[4:5], v[12:13], v[16:17]
	v_add_f64 v[6:7], v[14:15], v[18:19]
	v_add_f64 v[34:35], v[14:15], -v[18:19]
	v_add_f64 v[36:37], v[12:13], -v[16:17]
	v_fma_f64 v[32:33], v[58:59], -0.5, v[50:51]
	v_fma_f64 v[0:1], v[109:110], s[2:3], v[25:26]
	v_fma_f64 v[2:3], v[113:114], s[6:7], v[27:28]
	;; [unrolled: 1-line block ×3, first 2 shown]
	v_fma_f64 v[4:5], v[4:5], -0.5, v[8:9]
	v_fma_f64 v[6:7], v[6:7], -0.5, v[10:11]
	v_fma_f64 v[24:25], v[113:114], s[2:3], v[27:28]
	v_fma_f64 v[28:29], v[103:104], -0.5, v[48:49]
	v_mad_i32_i24 v21, v84, 48, 0
	v_add_u32_e32 v38, v21, v94
	ds_write_b128 v38, v[0:3] offset:16
	v_cmp_gt_u32_e32 vcc, 9, v74
	v_fma_f64 v[0:1], v[34:35], s[2:3], v[4:5]
	v_fma_f64 v[4:5], v[34:35], s[6:7], v[4:5]
	;; [unrolled: 1-line block ×8, first 2 shown]
	ds_write_b128 v38, v[22:25] offset:32
	v_mad_i32_i24 v22, v82, 48, 0
	v_add_u32_e32 v23, v22, v94
	ds_write_b128 v38, v[52:55]
	ds_write_b128 v23, v[40:43]
	ds_write_b128 v23, v[26:29] offset:16
	ds_write_b128 v23, v[30:33] offset:32
	s_and_saveexec_b64 s[2:3], vcc
	s_cbranch_execz .LBB0_15
; %bb.14:
	v_add_f64 v[10:11], v[10:11], v[14:15]
	v_add_f64 v[8:9], v[8:9], v[12:13]
	v_mul_i32_i24_e32 v12, 48, v80
	v_add3_u32 v12, 0, v12, v94
	v_add_f64 v[10:11], v[10:11], v[18:19]
	v_add_f64 v[8:9], v[8:9], v[16:17]
	ds_write_b128 v12, v[0:3] offset:16
	ds_write_b128 v12, v[8:11]
	ds_write_b128 v12, v[4:7] offset:32
.LBB0_15:
	s_or_b64 exec, exec, s[2:3]
	v_lshlrev_b32_e32 v12, 4, v78
	v_add3_u32 v93, 0, v12, v94
	v_lshlrev_b32_e32 v12, 5, v86
	v_sub_u32_e32 v12, v20, v12
	s_movk_i32 s18, 0xab
	v_add_u32_e32 v85, v12, v94
	v_lshlrev_b32_e32 v12, 5, v84
	v_mul_lo_u16_sdwa v28, v74, s18 dst_sel:DWORD dst_unused:UNUSED_PAD src0_sel:BYTE_0 src1_sel:DWORD
	v_sub_u32_e32 v12, v21, v12
	v_lshrrev_b16_e32 v32, 9, v28
	v_add_u32_e32 v83, v12, v94
	v_lshlrev_b32_e32 v12, 5, v82
	v_mul_lo_u16_e32 v28, 3, v32
	v_sub_u32_e32 v12, v22, v12
	v_sub_u16_e32 v33, v74, v28
	v_mov_b32_e32 v28, 15
	v_add_u32_e32 v81, v12, v94
	v_lshlrev_b32_e32 v12, 4, v80
	v_mul_u32_u24_sdwa v28, v33, v28 dst_sel:DWORD dst_unused:UNUSED_PAD src0_sel:BYTE_0 src1_sel:DWORD
	v_add3_u32 v95, 0, v12, v94
	v_lshlrev_b32_e32 v116, 4, v28
	s_waitcnt lgkmcnt(0)
	; wave barrier
	s_waitcnt lgkmcnt(0)
	ds_read_b128 v[8:11], v92
	ds_read_b128 v[34:37], v85
	;; [unrolled: 1-line block ×6, first 2 shown]
	ds_read_b128 v[50:53], v79 offset:2592
	ds_read_b128 v[54:57], v79 offset:3024
	;; [unrolled: 1-line block ×10, first 2 shown]
	global_load_dwordx4 v[100:103], v116, s[12:13] offset:48
	global_load_dwordx4 v[104:107], v116, s[12:13] offset:32
	;; [unrolled: 1-line block ×3, first 2 shown]
	global_load_dwordx4 v[112:115], v116, s[12:13]
	s_mov_b32 s2, 0x667f3bcd
	s_mov_b32 s3, 0xbfe6a09e
	;; [unrolled: 1-line block ×12, first 2 shown]
	v_mul_u32_u24_e32 v32, 48, v32
	v_or_b32_sdwa v32, v32, v33 dst_sel:DWORD dst_unused:UNUSED_PAD src0_sel:DWORD src1_sel:BYTE_0
	v_lshlrev_b32_e32 v32, 4, v32
	v_add3_u32 v32, 0, v32, v94
	s_waitcnt vmcnt(0) lgkmcnt(13)
	v_mul_f64 v[28:29], v[26:27], v[114:115]
	v_fma_f64 v[28:29], v[24:25], v[112:113], v[28:29]
	v_mul_f64 v[24:25], v[24:25], v[114:115]
	v_fma_f64 v[30:31], v[26:27], v[112:113], -v[24:25]
	v_mul_f64 v[24:25], v[36:37], v[110:111]
	s_waitcnt lgkmcnt(12)
	v_mul_f64 v[26:27], v[38:39], v[106:107]
	v_fma_f64 v[70:71], v[34:35], v[108:109], v[24:25]
	v_mul_f64 v[24:25], v[34:35], v[110:111]
	s_waitcnt lgkmcnt(11)
	v_mul_f64 v[34:35], v[44:45], v[102:103]
	v_fma_f64 v[26:27], v[40:41], v[104:105], -v[26:27]
	v_fma_f64 v[108:109], v[36:37], v[108:109], -v[24:25]
	v_mul_f64 v[24:25], v[40:41], v[106:107]
	v_fma_f64 v[24:25], v[38:39], v[104:105], v[24:25]
	v_fma_f64 v[104:105], v[42:43], v[100:101], v[34:35]
	v_mul_f64 v[34:35], v[42:43], v[102:103]
	v_fma_f64 v[106:107], v[44:45], v[100:101], -v[34:35]
	global_load_dwordx4 v[34:37], v116, s[12:13] offset:112
	global_load_dwordx4 v[38:41], v116, s[12:13] offset:96
	;; [unrolled: 1-line block ×4, first 2 shown]
	s_waitcnt vmcnt(0) lgkmcnt(10)
	v_mul_f64 v[110:111], v[48:49], v[102:103]
	v_fma_f64 v[110:111], v[46:47], v[100:101], v[110:111]
	v_mul_f64 v[46:47], v[46:47], v[102:103]
	v_fma_f64 v[100:101], v[48:49], v[100:101], -v[46:47]
	s_waitcnt lgkmcnt(9)
	v_mul_f64 v[46:47], v[52:53], v[44:45]
	v_mul_f64 v[44:45], v[50:51], v[44:45]
	v_fma_f64 v[102:103], v[50:51], v[42:43], v[46:47]
	v_fma_f64 v[50:51], v[52:53], v[42:43], -v[44:45]
	s_waitcnt lgkmcnt(8)
	v_mul_f64 v[42:43], v[56:57], v[40:41]
	v_mul_f64 v[40:41], v[54:55], v[40:41]
	v_fma_f64 v[52:53], v[54:55], v[38:39], v[42:43]
	;; [unrolled: 5-line block ×3, first 2 shown]
	v_fma_f64 v[58:59], v[60:61], v[34:35], -v[36:37]
	global_load_dwordx4 v[34:37], v116, s[12:13] offset:176
	global_load_dwordx4 v[38:41], v116, s[12:13] offset:160
	;; [unrolled: 1-line block ×4, first 2 shown]
	s_waitcnt vmcnt(0) lgkmcnt(6)
	v_mul_f64 v[60:61], v[64:65], v[48:49]
	v_mul_f64 v[48:49], v[62:63], v[48:49]
	v_fma_f64 v[60:61], v[62:63], v[46:47], v[60:61]
	v_fma_f64 v[46:47], v[64:65], v[46:47], -v[48:49]
	s_waitcnt lgkmcnt(5)
	v_mul_f64 v[48:49], v[68:69], v[44:45]
	v_mul_f64 v[44:45], v[66:67], v[44:45]
	v_add_f64 v[60:61], v[28:29], -v[60:61]
	v_add_f64 v[46:47], v[30:31], -v[46:47]
	v_fma_f64 v[48:49], v[66:67], v[42:43], v[48:49]
	v_fma_f64 v[62:63], v[68:69], v[42:43], -v[44:45]
	s_waitcnt lgkmcnt(4)
	v_mul_f64 v[42:43], v[89:90], v[40:41]
	v_mul_f64 v[40:41], v[87:88], v[40:41]
	v_fma_f64 v[28:29], v[28:29], 2.0, -v[60:61]
	v_fma_f64 v[30:31], v[30:31], 2.0, -v[46:47]
	v_fma_f64 v[64:65], v[87:88], v[38:39], v[42:43]
	v_fma_f64 v[66:67], v[89:90], v[38:39], -v[40:41]
	s_waitcnt lgkmcnt(3)
	v_mul_f64 v[38:39], v[98:99], v[36:37]
	v_mul_f64 v[36:37], v[96:97], v[36:37]
	v_add_f64 v[64:65], v[24:25], -v[64:65]
	v_add_f64 v[66:67], v[26:27], -v[66:67]
	v_fma_f64 v[68:69], v[96:97], v[34:35], v[38:39]
	v_fma_f64 v[87:88], v[98:99], v[34:35], -v[36:37]
	global_load_dwordx4 v[34:37], v116, s[12:13] offset:224
	global_load_dwordx4 v[38:41], v116, s[12:13] offset:208
	;; [unrolled: 1-line block ×3, first 2 shown]
	s_waitcnt lgkmcnt(0)
	; wave barrier
	s_waitcnt lgkmcnt(0)
	v_fma_f64 v[24:25], v[24:25], 2.0, -v[64:65]
	v_fma_f64 v[26:27], v[26:27], 2.0, -v[66:67]
	s_waitcnt vmcnt(0)
	v_mul_f64 v[89:90], v[22:23], v[44:45]
	v_fma_f64 v[89:90], v[20:21], v[42:43], v[89:90]
	v_mul_f64 v[20:21], v[20:21], v[44:45]
	v_add_f64 v[44:45], v[70:71], -v[48:49]
	v_add_f64 v[48:49], v[108:109], -v[62:63]
	v_fma_f64 v[20:21], v[22:23], v[42:43], -v[20:21]
	v_mul_f64 v[22:23], v[18:19], v[40:41]
	v_add_f64 v[20:21], v[100:101], -v[20:21]
	v_fma_f64 v[22:23], v[16:17], v[38:39], v[22:23]
	v_mul_f64 v[16:17], v[16:17], v[40:41]
	v_add_f64 v[22:23], v[102:103], -v[22:23]
	v_fma_f64 v[16:17], v[18:19], v[38:39], -v[16:17]
	v_mul_f64 v[18:19], v[14:15], v[36:37]
	v_add_f64 v[38:39], v[106:107], -v[87:88]
	v_fma_f64 v[87:88], v[100:101], 2.0, -v[20:21]
	v_add_f64 v[20:21], v[60:61], v[20:21]
	v_fma_f64 v[62:63], v[102:103], 2.0, -v[22:23]
	v_add_f64 v[16:17], v[50:51], -v[16:17]
	v_fma_f64 v[18:19], v[12:13], v[34:35], v[18:19]
	v_mul_f64 v[12:13], v[12:13], v[36:37]
	v_add_f64 v[36:37], v[104:105], -v[68:69]
	v_fma_f64 v[42:43], v[106:107], 2.0, -v[38:39]
	v_add_f64 v[68:69], v[110:111], -v[89:90]
	v_add_f64 v[22:23], v[48:49], -v[22:23]
	v_add_f64 v[87:88], v[30:31], -v[87:88]
	v_fma_f64 v[50:51], v[50:51], 2.0, -v[16:17]
	v_add_f64 v[16:17], v[44:45], v[16:17]
	v_fma_f64 v[12:13], v[14:15], v[34:35], -v[12:13]
	v_add_f64 v[14:15], v[8:9], -v[56:57]
	v_add_f64 v[34:35], v[10:11], -v[58:59]
	v_fma_f64 v[40:41], v[104:105], 2.0, -v[36:37]
	v_fma_f64 v[56:57], v[70:71], 2.0, -v[44:45]
	v_add_f64 v[18:19], v[52:53], -v[18:19]
	v_fma_f64 v[58:59], v[108:109], 2.0, -v[48:49]
	v_fma_f64 v[44:45], v[44:45], 2.0, -v[16:17]
	v_add_f64 v[12:13], v[54:55], -v[12:13]
	v_add_f64 v[38:39], v[14:15], v[38:39]
	v_fma_f64 v[8:9], v[8:9], 2.0, -v[14:15]
	v_add_f64 v[36:37], v[34:35], -v[36:37]
	v_fma_f64 v[10:11], v[10:11], 2.0, -v[34:35]
	v_fma_f64 v[70:71], v[110:111], 2.0, -v[68:69]
	;; [unrolled: 1-line block ×6, first 2 shown]
	v_add_f64 v[40:41], v[8:9], -v[40:41]
	v_fma_f64 v[34:35], v[34:35], 2.0, -v[36:37]
	v_add_f64 v[42:43], v[10:11], -v[42:43]
	v_add_f64 v[62:63], v[56:57], -v[62:63]
	;; [unrolled: 1-line block ×5, first 2 shown]
	v_fma_f64 v[89:90], v[44:45], s[2:3], v[14:15]
	v_add_f64 v[52:53], v[24:25], -v[52:53]
	v_add_f64 v[54:55], v[26:27], -v[54:55]
	v_add_f64 v[12:13], v[64:65], v[12:13]
	v_add_f64 v[18:19], v[66:67], -v[18:19]
	v_fma_f64 v[96:97], v[48:49], s[2:3], v[34:35]
	v_fma_f64 v[8:9], v[8:9], 2.0, -v[40:41]
	v_fma_f64 v[10:11], v[10:11], 2.0, -v[42:43]
	v_fma_f64 v[89:90], v[48:49], s[6:7], v[89:90]
	v_fma_f64 v[56:57], v[56:57], 2.0, -v[62:63]
	v_fma_f64 v[58:59], v[58:59], 2.0, -v[50:51]
	;; [unrolled: 1-line block ×10, first 2 shown]
	v_fma_f64 v[96:97], v[44:45], s[2:3], v[96:97]
	v_fma_f64 v[44:45], v[14:15], 2.0, -v[89:90]
	v_fma_f64 v[14:15], v[16:17], s[6:7], v[38:39]
	v_fma_f64 v[48:49], v[22:23], s[6:7], v[36:37]
	v_add_f64 v[56:57], v[8:9], -v[56:57]
	v_add_f64 v[58:59], v[10:11], -v[58:59]
	;; [unrolled: 1-line block ×5, first 2 shown]
	v_fma_f64 v[24:25], v[66:67], s[2:3], v[46:47]
	v_fma_f64 v[102:103], v[22:23], s[6:7], v[14:15]
	;; [unrolled: 1-line block ×4, first 2 shown]
	v_fma_f64 v[8:9], v[8:9], 2.0, -v[56:57]
	v_fma_f64 v[10:11], v[10:11], 2.0, -v[58:59]
	v_add_f64 v[98:99], v[40:41], v[50:51]
	v_fma_f64 v[14:15], v[28:29], 2.0, -v[62:63]
	v_fma_f64 v[16:17], v[30:31], 2.0, -v[106:107]
	v_fma_f64 v[64:65], v[64:65], s[2:3], v[24:25]
	v_fma_f64 v[50:51], v[36:37], 2.0, -v[104:105]
	v_fma_f64 v[66:67], v[66:67], s[6:7], v[22:23]
	v_add_f64 v[110:111], v[87:88], -v[52:53]
	v_fma_f64 v[36:37], v[18:19], s[6:7], v[68:69]
	v_fma_f64 v[34:35], v[34:35], 2.0, -v[96:97]
	v_add_f64 v[108:109], v[70:71], v[54:55]
	v_fma_f64 v[26:27], v[12:13], s[6:7], v[20:21]
	v_fma_f64 v[24:25], v[46:47], 2.0, -v[64:65]
	v_fma_f64 v[40:41], v[40:41], 2.0, -v[98:99]
	;; [unrolled: 1-line block ×4, first 2 shown]
	v_fma_f64 v[87:88], v[12:13], s[2:3], v[36:37]
	v_add_f64 v[12:13], v[8:9], -v[14:15]
	v_add_f64 v[14:15], v[10:11], -v[16:17]
	v_fma_f64 v[42:43], v[42:43], 2.0, -v[100:101]
	v_fma_f64 v[30:31], v[70:71], 2.0, -v[108:109]
	v_fma_f64 v[70:71], v[18:19], s[6:7], v[26:27]
	v_fma_f64 v[48:49], v[38:39], 2.0, -v[102:103]
	v_fma_f64 v[38:39], v[68:69], 2.0, -v[87:88]
	;; [unrolled: 1-line block ×4, first 2 shown]
	v_fma_f64 v[8:9], v[22:23], s[16:17], v[44:45]
	v_fma_f64 v[10:11], v[24:25], s[16:17], v[34:35]
	v_fma_f64 v[46:47], v[20:21], 2.0, -v[70:71]
	v_fma_f64 v[20:21], v[24:25], s[14:15], v[8:9]
	v_fma_f64 v[22:23], v[22:23], s[8:9], v[10:11]
	;; [unrolled: 1-line block ×4, first 2 shown]
	v_fma_f64 v[24:25], v[44:45], 2.0, -v[20:21]
	v_fma_f64 v[26:27], v[34:35], 2.0, -v[22:23]
	v_fma_f64 v[28:29], v[28:29], s[6:7], v[8:9]
	v_fma_f64 v[30:31], v[30:31], s[2:3], v[10:11]
	v_fma_f64 v[8:9], v[46:47], s[8:9], v[48:49]
	v_fma_f64 v[10:11], v[38:39], s[8:9], v[50:51]
	v_fma_f64 v[34:35], v[40:41], 2.0, -v[28:29]
	v_fma_f64 v[36:37], v[42:43], 2.0, -v[30:31]
	v_fma_f64 v[38:39], v[38:39], s[20:21], v[8:9]
	v_fma_f64 v[40:41], v[46:47], s[16:17], v[10:11]
	v_add_f64 v[46:47], v[56:57], v[106:107]
	v_fma_f64 v[8:9], v[66:67], s[14:15], v[89:90]
	v_fma_f64 v[10:11], v[64:65], s[14:15], v[96:97]
	v_fma_f64 v[42:43], v[48:49], 2.0, -v[38:39]
	v_fma_f64 v[44:45], v[50:51], 2.0, -v[40:41]
	;; [unrolled: 1-line block ×3, first 2 shown]
	v_fma_f64 v[54:55], v[64:65], s[20:21], v[8:9]
	v_fma_f64 v[56:57], v[66:67], s[16:17], v[10:11]
	;; [unrolled: 1-line block ×4, first 2 shown]
	v_add_f64 v[48:49], v[58:59], -v[62:63]
	v_fma_f64 v[60:61], v[96:97], 2.0, -v[56:57]
	v_fma_f64 v[62:63], v[110:111], s[6:7], v[8:9]
	v_fma_f64 v[64:65], v[108:109], s[2:3], v[10:11]
	;; [unrolled: 1-line block ×4, first 2 shown]
	v_fma_f64 v[52:53], v[58:59], 2.0, -v[48:49]
	v_fma_f64 v[58:59], v[89:90], 2.0, -v[54:55]
	;; [unrolled: 1-line block ×4, first 2 shown]
	v_fma_f64 v[8:9], v[87:88], s[14:15], v[8:9]
	v_fma_f64 v[10:11], v[70:71], s[8:9], v[10:11]
	v_fma_f64 v[87:88], v[102:103], 2.0, -v[8:9]
	v_fma_f64 v[89:90], v[104:105], 2.0, -v[10:11]
	ds_write_b128 v32, v[16:19]
	ds_write_b128 v32, v[24:27] offset:48
	ds_write_b128 v32, v[34:37] offset:96
	;; [unrolled: 1-line block ×15, first 2 shown]
	s_waitcnt lgkmcnt(0)
	; wave barrier
	s_waitcnt lgkmcnt(0)
	ds_read_b128 v[28:31], v92
	ds_read_b128 v[68:71], v79 offset:2304
	ds_read_b128 v[64:67], v79 offset:4608
	ds_read_b128 v[24:27], v93
	ds_read_b128 v[56:59], v79 offset:2736
	ds_read_b128 v[60:63], v79 offset:5040
	;; [unrolled: 3-line block ×5, first 2 shown]
	s_and_saveexec_b64 s[2:3], vcc
	s_cbranch_execz .LBB0_17
; %bb.16:
	ds_read_b128 v[8:11], v95
	ds_read_b128 v[0:3], v79 offset:4464
	ds_read_b128 v[4:7], v79 offset:6768
.LBB0_17:
	s_or_b64 exec, exec, s[2:3]
	v_lshlrev_b32_e32 v105, 1, v74
	v_mov_b32_e32 v106, 0
	v_lshlrev_b64 v[87:88], 4, v[105:106]
	v_mov_b32_e32 v111, s13
	v_add_co_u32_e64 v87, s[2:3], s12, v87
	v_addc_co_u32_e64 v88, s[2:3], v111, v88, s[2:3]
	global_load_dwordx4 v[96:99], v[87:88], off offset:736
	global_load_dwordx4 v[100:103], v[87:88], off offset:720
	v_cmp_gt_u32_e64 s[2:3], 21, v74
	v_add_u32_e32 v105, 12, v105
	s_mov_b32 s7, 0x3febb67a
	s_waitcnt vmcnt(0) lgkmcnt(13)
	v_mul_f64 v[89:90], v[70:71], v[102:103]
	v_fma_f64 v[89:90], v[68:69], v[100:101], v[89:90]
	v_mul_f64 v[68:69], v[68:69], v[102:103]
	v_fma_f64 v[107:108], v[70:71], v[100:101], -v[68:69]
	s_waitcnt lgkmcnt(12)
	v_mul_f64 v[68:69], v[66:67], v[98:99]
	v_fma_f64 v[68:69], v[64:65], v[96:97], v[68:69]
	v_mul_f64 v[64:65], v[64:65], v[98:99]
	v_fma_f64 v[109:110], v[66:67], v[96:97], -v[64:65]
	v_subrev_u32_e32 v64, 21, v74
	v_cndmask_b32_e64 v96, v64, v78, s[2:3]
	v_lshlrev_b32_e32 v64, 1, v96
	v_mov_b32_e32 v65, v106
	v_lshlrev_b64 v[64:65], 4, v[64:65]
	v_add_co_u32_e64 v64, s[2:3], s12, v64
	v_addc_co_u32_e64 v65, s[2:3], v111, v65, s[2:3]
	global_load_dwordx4 v[97:100], v[64:65], off offset:736
	global_load_dwordx4 v[101:104], v[64:65], off offset:720
	s_waitcnt vmcnt(0) lgkmcnt(10)
	v_mul_f64 v[64:65], v[58:59], v[103:104]
	v_fma_f64 v[64:65], v[56:57], v[101:102], v[64:65]
	v_mul_f64 v[56:57], v[56:57], v[103:104]
	v_fma_f64 v[56:57], v[58:59], v[101:102], -v[56:57]
	s_waitcnt lgkmcnt(9)
	v_mul_f64 v[58:59], v[62:63], v[99:100]
	v_fma_f64 v[58:59], v[60:61], v[97:98], v[58:59]
	v_mul_f64 v[60:61], v[60:61], v[99:100]
	v_fma_f64 v[60:61], v[62:63], v[97:98], -v[60:61]
	v_lshlrev_b64 v[62:63], 4, v[105:106]
	v_add_co_u32_e64 v62, s[2:3], s12, v62
	v_addc_co_u32_e64 v63, s[2:3], v111, v63, s[2:3]
	global_load_dwordx4 v[97:100], v[62:63], off offset:736
	global_load_dwordx4 v[101:104], v[62:63], off offset:720
	v_mov_b32_e32 v111, 5
	s_mov_b32 s2, 0xe8584caa
	s_mov_b32 s3, 0xbfebb67a
	;; [unrolled: 1-line block ×3, first 2 shown]
	s_waitcnt vmcnt(0) lgkmcnt(7)
	v_mul_f64 v[62:63], v[54:55], v[103:104]
	v_fma_f64 v[62:63], v[52:53], v[101:102], v[62:63]
	v_mul_f64 v[52:53], v[52:53], v[103:104]
	v_fma_f64 v[54:55], v[54:55], v[101:102], -v[52:53]
	s_waitcnt lgkmcnt(6)
	v_mul_f64 v[52:53], v[50:51], v[99:100]
	v_fma_f64 v[66:67], v[48:49], v[97:98], v[52:53]
	v_mul_f64 v[48:49], v[48:49], v[99:100]
	v_fma_f64 v[70:71], v[50:51], v[97:98], -v[48:49]
	v_mul_lo_u16_sdwa v48, v84, s18 dst_sel:DWORD dst_unused:UNUSED_PAD src0_sel:BYTE_0 src1_sel:DWORD
	v_lshrrev_b16_e32 v97, 13, v48
	v_mul_lo_u16_e32 v48, 48, v97
	v_sub_u16_e32 v98, v84, v48
	v_lshlrev_b32_sdwa v48, v111, v98 dst_sel:DWORD dst_unused:UNUSED_PAD src0_sel:DWORD src1_sel:BYTE_0
	global_load_dwordx4 v[99:102], v48, s[12:13] offset:736
	global_load_dwordx4 v[50:53], v48, s[12:13] offset:720
	s_waitcnt vmcnt(0) lgkmcnt(4)
	v_mul_f64 v[48:49], v[42:43], v[52:53]
	v_fma_f64 v[48:49], v[40:41], v[50:51], v[48:49]
	v_mul_f64 v[40:41], v[40:41], v[52:53]
	v_fma_f64 v[50:51], v[42:43], v[50:51], -v[40:41]
	s_waitcnt lgkmcnt(3)
	v_mul_f64 v[40:41], v[46:47], v[101:102]
	v_fma_f64 v[52:53], v[44:45], v[99:100], v[40:41]
	v_mul_f64 v[40:41], v[44:45], v[101:102]
	v_fma_f64 v[44:45], v[46:47], v[99:100], -v[40:41]
	v_mul_lo_u16_sdwa v40, v82, s18 dst_sel:DWORD dst_unused:UNUSED_PAD src0_sel:BYTE_0 src1_sel:DWORD
	v_lshrrev_b16_e32 v40, 13, v40
	v_mul_lo_u16_e32 v40, 48, v40
	v_sub_u16_e32 v46, v82, v40
	v_lshlrev_b32_sdwa v40, v111, v46 dst_sel:DWORD dst_unused:UNUSED_PAD src0_sel:DWORD src1_sel:BYTE_0
	global_load_dwordx4 v[99:102], v40, s[12:13] offset:736
	global_load_dwordx4 v[103:106], v40, s[12:13] offset:720
	;; [unrolled: 17-line block ×3, first 2 shown]
	s_waitcnt lgkmcnt(0)
	; wave barrier
	s_waitcnt vmcnt(0)
	v_mul_f64 v[103:104], v[2:3], v[101:102]
	v_fma_f64 v[115:116], v[0:1], v[99:100], v[103:104]
	v_mul_f64 v[0:1], v[0:1], v[101:102]
	v_fma_f64 v[117:118], v[2:3], v[99:100], -v[0:1]
	v_mul_f64 v[0:1], v[6:7], v[34:35]
	v_add_f64 v[2:3], v[107:108], -v[109:110]
	v_fma_f64 v[119:120], v[4:5], v[32:33], v[0:1]
	v_mul_f64 v[0:1], v[4:5], v[34:35]
	v_fma_f64 v[6:7], v[6:7], v[32:33], -v[0:1]
	v_add_f64 v[0:1], v[28:29], v[89:90]
	v_add_f64 v[32:33], v[0:1], v[68:69]
	;; [unrolled: 1-line block ×3, first 2 shown]
	v_fma_f64 v[0:1], v[0:1], -0.5, v[28:29]
	v_fma_f64 v[28:29], v[2:3], s[2:3], v[0:1]
	v_fma_f64 v[99:100], v[2:3], s[6:7], v[0:1]
	v_add_f64 v[0:1], v[30:31], v[107:108]
	v_add_f64 v[2:3], v[89:90], -v[68:69]
	v_add_f64 v[34:35], v[0:1], v[109:110]
	v_add_f64 v[0:1], v[107:108], v[109:110]
	v_fma_f64 v[0:1], v[0:1], -0.5, v[30:31]
	v_fma_f64 v[30:31], v[2:3], s[6:7], v[0:1]
	v_fma_f64 v[101:102], v[2:3], s[2:3], v[0:1]
	v_add_f64 v[0:1], v[24:25], v[64:65]
	v_add_f64 v[2:3], v[56:57], -v[60:61]
	ds_write_b128 v79, v[32:35]
	ds_write_b128 v79, v[28:31] offset:768
	ds_write_b128 v79, v[99:102] offset:1536
	v_add_f64 v[103:104], v[0:1], v[58:59]
	v_add_f64 v[0:1], v[64:65], v[58:59]
	v_fma_f64 v[0:1], v[0:1], -0.5, v[24:25]
	v_fma_f64 v[24:25], v[2:3], s[2:3], v[0:1]
	v_fma_f64 v[107:108], v[2:3], s[6:7], v[0:1]
	v_add_f64 v[0:1], v[26:27], v[56:57]
	v_add_f64 v[2:3], v[64:65], -v[58:59]
	v_add_f64 v[105:106], v[0:1], v[60:61]
	v_add_f64 v[0:1], v[56:57], v[60:61]
	v_fma_f64 v[0:1], v[0:1], -0.5, v[26:27]
	v_fma_f64 v[26:27], v[2:3], s[6:7], v[0:1]
	v_fma_f64 v[109:110], v[2:3], s[2:3], v[0:1]
	v_add_f64 v[0:1], v[20:21], v[62:63]
	v_add_f64 v[2:3], v[54:55], -v[70:71]
	;; [unrolled: 7-line block ×6, first 2 shown]
	v_add_f64 v[48:49], v[0:1], v[38:39]
	v_add_f64 v[0:1], v[40:41], v[38:39]
	v_fma_f64 v[0:1], v[0:1], -0.5, v[12:13]
	v_add_f64 v[12:13], v[115:116], -v[119:120]
	v_fma_f64 v[52:53], v[2:3], s[2:3], v[0:1]
	v_fma_f64 v[111:112], v[2:3], s[6:7], v[0:1]
	v_add_f64 v[0:1], v[14:15], v[36:37]
	v_add_f64 v[2:3], v[40:41], -v[38:39]
	v_add_f64 v[50:51], v[0:1], v[42:43]
	v_add_f64 v[0:1], v[36:37], v[42:43]
	v_fma_f64 v[0:1], v[0:1], -0.5, v[14:15]
	v_fma_f64 v[54:55], v[2:3], s[6:7], v[0:1]
	v_fma_f64 v[113:114], v[2:3], s[2:3], v[0:1]
	v_add_f64 v[2:3], v[115:116], v[119:120]
	v_add_f64 v[0:1], v[8:9], v[115:116]
	v_fma_f64 v[2:3], v[2:3], -0.5, v[8:9]
	v_add_f64 v[8:9], v[117:118], -v[6:7]
	v_add_f64 v[0:1], v[0:1], v[119:120]
	v_fma_f64 v[4:5], v[8:9], s[2:3], v[2:3]
	v_fma_f64 v[8:9], v[8:9], s[6:7], v[2:3]
	v_add_f64 v[2:3], v[10:11], v[117:118]
	v_add_f64 v[2:3], v[2:3], v[6:7]
	;; [unrolled: 1-line block ×3, first 2 shown]
	v_fma_f64 v[10:11], v[6:7], -0.5, v[10:11]
	v_fma_f64 v[6:7], v[12:13], s[6:7], v[10:11]
	v_fma_f64 v[10:11], v[12:13], s[2:3], v[10:11]
	v_cmp_lt_u32_e64 s[2:3], 20, v74
	v_mov_b32_e32 v12, 0x900
	v_cndmask_b32_e64 v12, 0, v12, s[2:3]
	v_add_u32_e32 v12, 0, v12
	v_lshlrev_b32_e32 v13, 4, v96
	v_add3_u32 v12, v12, v13, v94
	s_movk_i32 s6, 0x900
	ds_write_b128 v12, v[103:106]
	ds_write_b128 v12, v[24:27] offset:768
	ds_write_b128 v12, v[107:110] offset:1536
	;; [unrolled: 1-line block ×5, first 2 shown]
	v_mov_b32_e32 v12, 4
	v_mad_u32_u24 v13, v97, s6, 0
	v_lshlrev_b32_sdwa v14, v12, v98 dst_sel:DWORD dst_unused:UNUSED_PAD src0_sel:DWORD src1_sel:BYTE_0
	v_add3_u32 v13, v13, v14, v94
	ds_write_b128 v13, v[64:67]
	ds_write_b128 v13, v[16:19] offset:768
	ds_write_b128 v13, v[68:71] offset:1536
	v_lshlrev_b32_sdwa v13, v12, v46 dst_sel:DWORD dst_unused:UNUSED_PAD src0_sel:DWORD src1_sel:BYTE_0
	v_add3_u32 v13, 0, v13, v94
	ds_write_b128 v13, v[48:51] offset:4608
	ds_write_b128 v13, v[52:55] offset:5376
	;; [unrolled: 1-line block ×3, first 2 shown]
	s_and_saveexec_b64 s[2:3], vcc
	s_cbranch_execz .LBB0_19
; %bb.18:
	v_lshlrev_b32_sdwa v12, v12, v47 dst_sel:DWORD dst_unused:UNUSED_PAD src0_sel:DWORD src1_sel:BYTE_0
	v_add3_u32 v12, 0, v12, v94
	ds_write_b128 v12, v[0:3] offset:4608
	ds_write_b128 v12, v[4:7] offset:5376
	;; [unrolled: 1-line block ×3, first 2 shown]
.LBB0_19:
	s_or_b64 exec, exec, s[2:3]
	s_waitcnt lgkmcnt(0)
	; wave barrier
	s_waitcnt lgkmcnt(0)
	ds_read_b128 v[28:31], v92
	ds_read_b128 v[68:71], v79 offset:2304
	ds_read_b128 v[64:67], v79 offset:4608
	;; [unrolled: 1-line block ×5, first 2 shown]
	ds_read_b128 v[20:23], v85
	ds_read_b128 v[16:19], v83
	ds_read_b128 v[52:55], v79 offset:5472
	ds_read_b128 v[40:43], v79 offset:5904
	ds_read_b128 v[12:15], v81
	ds_read_b128 v[44:47], v79 offset:3600
	ds_read_b128 v[36:39], v79 offset:4032
	ds_read_b128 v[24:27], v93
	ds_read_b128 v[32:35], v79 offset:6336
	s_and_saveexec_b64 s[2:3], vcc
	s_cbranch_execz .LBB0_21
; %bb.20:
	ds_read_b128 v[0:3], v95
	ds_read_b128 v[4:7], v79 offset:4464
	ds_read_b128 v[8:11], v79 offset:6768
.LBB0_21:
	s_or_b64 exec, exec, s[2:3]
	global_load_dwordx4 v[94:97], v[87:88], off offset:2272
	global_load_dwordx4 v[98:101], v[87:88], off offset:2256
	v_mov_b32_e32 v110, s13
	s_waitcnt vmcnt(0) lgkmcnt(13)
	v_mul_f64 v[87:88], v[70:71], v[100:101]
	v_fma_f64 v[102:103], v[68:69], v[98:99], v[87:88]
	v_mul_f64 v[68:69], v[68:69], v[100:101]
	v_fma_f64 v[70:71], v[70:71], v[98:99], -v[68:69]
	s_waitcnt lgkmcnt(12)
	v_mul_f64 v[68:69], v[66:67], v[96:97]
	v_fma_f64 v[98:99], v[64:65], v[94:95], v[68:69]
	v_mul_f64 v[64:65], v[64:65], v[96:97]
	v_fma_f64 v[94:95], v[66:67], v[94:95], -v[64:65]
	v_lshlrev_b32_e32 v64, 1, v78
	v_mov_b32_e32 v65, 0
	v_lshlrev_b64 v[66:67], 4, v[64:65]
	v_lshlrev_b32_e32 v64, 1, v86
	v_add_co_u32_e64 v96, s[2:3], s12, v66
	v_addc_co_u32_e64 v97, s[2:3], v110, v67, s[2:3]
	global_load_dwordx4 v[66:69], v[96:97], off offset:2272
	global_load_dwordx4 v[87:90], v[96:97], off offset:2256
	s_waitcnt vmcnt(0) lgkmcnt(10)
	v_mul_f64 v[96:97], v[62:63], v[89:90]
	v_fma_f64 v[96:97], v[60:61], v[87:88], v[96:97]
	v_mul_f64 v[60:61], v[60:61], v[89:90]
	v_fma_f64 v[87:88], v[62:63], v[87:88], -v[60:61]
	v_mul_f64 v[60:61], v[58:59], v[68:69]
	v_fma_f64 v[89:90], v[56:57], v[66:67], v[60:61]
	v_mul_f64 v[56:57], v[56:57], v[68:69]
	v_fma_f64 v[66:67], v[58:59], v[66:67], -v[56:57]
	v_lshlrev_b64 v[56:57], 4, v[64:65]
	v_lshlrev_b32_e32 v64, 1, v84
	v_add_co_u32_e64 v68, s[2:3], s12, v56
	v_addc_co_u32_e64 v69, s[2:3], v110, v57, s[2:3]
	global_load_dwordx4 v[56:59], v[68:69], off offset:2272
	global_load_dwordx4 v[60:63], v[68:69], off offset:2256
	s_waitcnt vmcnt(0) lgkmcnt(9)
	v_mul_f64 v[68:69], v[50:51], v[62:63]
	v_fma_f64 v[68:69], v[48:49], v[60:61], v[68:69]
	v_mul_f64 v[48:49], v[48:49], v[62:63]
	v_fma_f64 v[60:61], v[50:51], v[60:61], -v[48:49]
	s_waitcnt lgkmcnt(6)
	v_mul_f64 v[48:49], v[54:55], v[58:59]
	v_fma_f64 v[62:63], v[52:53], v[56:57], v[48:49]
	v_mul_f64 v[48:49], v[52:53], v[58:59]
	v_fma_f64 v[56:57], v[54:55], v[56:57], -v[48:49]
	v_lshlrev_b64 v[48:49], 4, v[64:65]
	v_lshlrev_b32_e32 v64, 1, v82
	v_add_co_u32_e64 v58, s[2:3], s12, v48
	v_addc_co_u32_e64 v59, s[2:3], v110, v49, s[2:3]
	global_load_dwordx4 v[48:51], v[58:59], off offset:2272
	global_load_dwordx4 v[52:55], v[58:59], off offset:2256
	s_waitcnt vmcnt(0) lgkmcnt(3)
	v_mul_f64 v[58:59], v[46:47], v[54:55]
	v_fma_f64 v[100:101], v[44:45], v[52:53], v[58:59]
	v_mul_f64 v[44:45], v[44:45], v[54:55]
	v_add_f64 v[54:55], v[60:61], v[56:57]
	v_fma_f64 v[104:105], v[46:47], v[52:53], -v[44:45]
	v_mul_f64 v[44:45], v[42:43], v[50:51]
	v_add_f64 v[52:53], v[60:61], -v[56:57]
	v_fma_f64 v[54:55], v[54:55], -0.5, v[22:23]
	v_fma_f64 v[106:107], v[40:41], v[48:49], v[44:45]
	v_mul_f64 v[40:41], v[40:41], v[50:51]
	v_add_f64 v[50:51], v[68:69], v[62:63]
	v_add_f64 v[58:59], v[100:101], v[106:107]
	v_fma_f64 v[108:109], v[42:43], v[48:49], -v[40:41]
	v_lshlrev_b64 v[40:41], 4, v[64:65]
	v_fma_f64 v[50:51], v[50:51], -0.5, v[20:21]
	v_add_co_u32_e64 v48, s[2:3], s12, v40
	v_addc_co_u32_e64 v49, s[2:3], v110, v41, s[2:3]
	global_load_dwordx4 v[40:43], v[48:49], off offset:2272
	global_load_dwordx4 v[44:47], v[48:49], off offset:2256
	s_mov_b32 s2, 0xe8584caa
	s_mov_b32 s3, 0xbfebb67a
	s_mov_b32 s6, s2
	v_fma_f64 v[58:59], v[58:59], -0.5, v[16:17]
	s_waitcnt lgkmcnt(0)
	; wave barrier
	s_waitcnt vmcnt(0) lgkmcnt(0)
	v_mul_f64 v[48:49], v[38:39], v[46:47]
	v_fma_f64 v[110:111], v[36:37], v[44:45], v[48:49]
	v_mul_f64 v[36:37], v[36:37], v[46:47]
	v_add_f64 v[46:47], v[87:88], v[66:67]
	v_add_f64 v[48:49], v[96:97], -v[89:90]
	v_fma_f64 v[112:113], v[38:39], v[44:45], -v[36:37]
	v_mul_f64 v[36:37], v[34:35], v[42:43]
	v_add_f64 v[38:39], v[70:71], v[94:95]
	v_add_f64 v[44:45], v[87:88], -v[66:67]
	v_fma_f64 v[46:47], v[46:47], -0.5, v[26:27]
	v_fma_f64 v[114:115], v[32:33], v[40:41], v[36:37]
	v_mul_f64 v[32:33], v[32:33], v[42:43]
	v_add_f64 v[42:43], v[96:97], v[89:90]
	v_add_f64 v[36:37], v[70:71], -v[94:95]
	v_fma_f64 v[38:39], v[38:39], -0.5, v[30:31]
	v_fma_f64 v[116:117], v[34:35], v[40:41], -v[32:33]
	v_add_f64 v[34:35], v[102:103], v[98:99]
	v_add_f64 v[40:41], v[102:103], -v[98:99]
	v_fma_f64 v[42:43], v[42:43], -0.5, v[24:25]
	v_add_f64 v[32:33], v[28:29], v[102:103]
	v_fma_f64 v[34:35], v[34:35], -0.5, v[28:29]
	v_add_f64 v[32:33], v[32:33], v[98:99]
	v_fma_f64 v[28:29], v[36:37], s[2:3], v[34:35]
	v_fma_f64 v[36:37], v[36:37], s[6:7], v[34:35]
	v_add_f64 v[34:35], v[30:31], v[70:71]
	v_fma_f64 v[30:31], v[40:41], s[6:7], v[38:39]
	v_fma_f64 v[38:39], v[40:41], s[2:3], v[38:39]
	;; [unrolled: 3-line block ×5, first 2 shown]
	v_add_f64 v[50:51], v[22:23], v[60:61]
	v_add_f64 v[60:61], v[104:105], -v[108:109]
	v_add_f64 v[42:43], v[42:43], v[66:67]
	v_add_f64 v[66:67], v[100:101], -v[106:107]
	v_add_f64 v[70:71], v[112:113], -v[116:117]
	v_add_f64 v[48:49], v[48:49], v[62:63]
	v_add_f64 v[34:35], v[34:35], v[94:95]
	;; [unrolled: 1-line block ×4, first 2 shown]
	v_add_f64 v[56:57], v[68:69], -v[62:63]
	v_add_f64 v[62:63], v[104:105], v[108:109]
	v_add_f64 v[68:69], v[110:111], v[114:115]
	v_add_f64 v[89:90], v[110:111], -v[114:115]
	v_fma_f64 v[22:23], v[56:57], s[6:7], v[54:55]
	v_fma_f64 v[62:63], v[62:63], -0.5, v[18:19]
	v_fma_f64 v[68:69], v[68:69], -0.5, v[12:13]
	v_fma_f64 v[54:55], v[56:57], s[2:3], v[54:55]
	v_add_f64 v[56:57], v[16:17], v[100:101]
	v_fma_f64 v[16:17], v[60:61], s[2:3], v[58:59]
	v_fma_f64 v[60:61], v[60:61], s[6:7], v[58:59]
	v_add_f64 v[58:59], v[18:19], v[104:105]
	v_fma_f64 v[18:19], v[66:67], s[6:7], v[62:63]
	;; [unrolled: 3-line block ×3, first 2 shown]
	v_fma_f64 v[87:88], v[70:71], s[6:7], v[68:69]
	v_add_f64 v[70:71], v[112:113], v[116:117]
	v_add_f64 v[68:69], v[14:15], v[112:113]
	;; [unrolled: 1-line block ×5, first 2 shown]
	v_fma_f64 v[70:71], v[70:71], -0.5, v[14:15]
	v_add_f64 v[68:69], v[68:69], v[116:117]
	v_fma_f64 v[14:15], v[89:90], s[6:7], v[70:71]
	v_fma_f64 v[89:90], v[89:90], s[2:3], v[70:71]
	ds_write_b128 v79, v[32:35]
	ds_write_b128 v79, v[28:31] offset:2304
	ds_write_b128 v79, v[36:39] offset:4608
	ds_write_b128 v93, v[40:43]
	ds_write_b128 v93, v[24:27] offset:2304
	ds_write_b128 v93, v[44:47] offset:4608
	;; [unrolled: 3-line block ×5, first 2 shown]
	s_and_saveexec_b64 s[8:9], vcc
	s_cbranch_execz .LBB0_23
; %bb.22:
	v_add_u32_e32 v12, -9, v74
	v_cndmask_b32_e32 v12, v12, v80, vcc
	v_lshlrev_b32_e32 v64, 1, v12
	v_lshlrev_b64 v[12:13], 4, v[64:65]
	v_mov_b32_e32 v14, s13
	v_add_co_u32_e32 v20, vcc, s12, v12
	v_addc_co_u32_e32 v21, vcc, v14, v13, vcc
	global_load_dwordx4 v[12:15], v[20:21], off offset:2256
	global_load_dwordx4 v[16:19], v[20:21], off offset:2272
	s_waitcnt vmcnt(1)
	v_mul_f64 v[20:21], v[4:5], v[14:15]
	s_waitcnt vmcnt(0)
	v_mul_f64 v[22:23], v[8:9], v[18:19]
	v_mul_f64 v[14:15], v[6:7], v[14:15]
	;; [unrolled: 1-line block ×3, first 2 shown]
	v_fma_f64 v[6:7], v[6:7], v[12:13], -v[20:21]
	v_fma_f64 v[10:11], v[10:11], v[16:17], -v[22:23]
	v_fma_f64 v[4:5], v[4:5], v[12:13], v[14:15]
	v_fma_f64 v[8:9], v[8:9], v[16:17], v[18:19]
	v_add_f64 v[18:19], v[2:3], v[6:7]
	v_add_f64 v[12:13], v[6:7], v[10:11]
	v_add_f64 v[20:21], v[6:7], -v[10:11]
	v_add_f64 v[14:15], v[4:5], v[8:9]
	v_add_f64 v[16:17], v[4:5], -v[8:9]
	v_add_f64 v[4:5], v[0:1], v[4:5]
	v_fma_f64 v[12:13], v[12:13], -0.5, v[2:3]
	v_add_f64 v[2:3], v[18:19], v[10:11]
	v_fma_f64 v[14:15], v[14:15], -0.5, v[0:1]
	v_add_f64 v[0:1], v[4:5], v[8:9]
	v_fma_f64 v[10:11], v[16:17], s[6:7], v[12:13]
	v_fma_f64 v[6:7], v[16:17], s[2:3], v[12:13]
	;; [unrolled: 1-line block ×4, first 2 shown]
	ds_write_b128 v79, v[0:3] offset:2160
	ds_write_b128 v79, v[8:11] offset:4464
	;; [unrolled: 1-line block ×3, first 2 shown]
.LBB0_23:
	s_or_b64 exec, exec, s[8:9]
	s_waitcnt lgkmcnt(0)
	; wave barrier
	s_waitcnt lgkmcnt(0)
	ds_read_b128 v[4:7], v92
	s_add_u32 s6, s12, 0x1ad0
	s_addc_u32 s7, s13, 0
	v_sub_u32_e32 v14, v91, v75
	v_cmp_ne_u32_e32 vcc, 0, v74
                                        ; implicit-def: $vgpr0_vgpr1
                                        ; implicit-def: $vgpr10_vgpr11
                                        ; implicit-def: $vgpr12_vgpr13
                                        ; implicit-def: $vgpr8_vgpr9
	s_and_saveexec_b64 s[2:3], vcc
	s_xor_b64 s[2:3], exec, s[2:3]
	s_cbranch_execz .LBB0_25
; %bb.24:
	v_mov_b32_e32 v75, 0
	v_lshlrev_b64 v[0:1], 4, v[74:75]
	v_mov_b32_e32 v2, s7
	v_add_co_u32_e32 v0, vcc, s6, v0
	v_addc_co_u32_e32 v1, vcc, v2, v1, vcc
	global_load_dwordx4 v[8:11], v[0:1], off
	ds_read_b128 v[0:3], v14 offset:6912
	s_waitcnt lgkmcnt(0)
	v_add_f64 v[12:13], v[4:5], -v[0:1]
	v_add_f64 v[15:16], v[6:7], v[2:3]
	v_add_f64 v[2:3], v[6:7], -v[2:3]
	v_add_f64 v[0:1], v[4:5], v[0:1]
	v_mul_f64 v[6:7], v[12:13], 0.5
	v_mul_f64 v[4:5], v[15:16], 0.5
	;; [unrolled: 1-line block ×3, first 2 shown]
	s_waitcnt vmcnt(0)
	v_mul_f64 v[12:13], v[6:7], v[10:11]
	v_fma_f64 v[15:16], v[4:5], v[10:11], v[2:3]
	v_fma_f64 v[2:3], v[4:5], v[10:11], -v[2:3]
	v_fma_f64 v[17:18], v[0:1], 0.5, v[12:13]
	v_fma_f64 v[0:1], v[0:1], 0.5, -v[12:13]
	v_fma_f64 v[12:13], -v[8:9], v[6:7], v[15:16]
	v_fma_f64 v[2:3], -v[8:9], v[6:7], v[2:3]
	v_fma_f64 v[10:11], v[4:5], v[8:9], v[17:18]
	v_fma_f64 v[0:1], -v[4:5], v[8:9], v[0:1]
	v_mov_b32_e32 v8, v74
	v_mov_b32_e32 v9, v75
                                        ; implicit-def: $vgpr4_vgpr5
.LBB0_25:
	s_andn2_saveexec_b64 s[2:3], s[2:3]
	s_cbranch_execz .LBB0_27
; %bb.26:
	s_waitcnt lgkmcnt(0)
	v_add_f64 v[10:11], v[4:5], v[6:7]
	ds_read_b64 v[2:3], v91 offset:3464
	v_add_f64 v[0:1], v[4:5], -v[6:7]
	v_mov_b32_e32 v12, 0
	v_mov_b32_e32 v13, 0
	;; [unrolled: 1-line block ×3, first 2 shown]
	s_waitcnt lgkmcnt(0)
	v_xor_b32_e32 v3, 0x80000000, v3
	ds_write_b64 v91, v[2:3] offset:3464
	v_mov_b32_e32 v2, v12
	v_mov_b32_e32 v9, 0
	;; [unrolled: 1-line block ×3, first 2 shown]
.LBB0_27:
	s_or_b64 exec, exec, s[2:3]
	v_mov_b32_e32 v79, 0
	s_waitcnt lgkmcnt(0)
	v_lshlrev_b64 v[4:5], 4, v[78:79]
	v_mov_b32_e32 v6, s7
	v_add_co_u32_e32 v4, vcc, s6, v4
	v_addc_co_u32_e32 v5, vcc, v6, v5, vcc
	global_load_dwordx4 v[4:7], v[4:5], off
	v_mov_b32_e32 v87, v79
	v_lshlrev_b64 v[15:16], 4, v[86:87]
	v_mov_b32_e32 v17, s7
	v_add_co_u32_e32 v15, vcc, s6, v15
	v_addc_co_u32_e32 v16, vcc, v17, v16, vcc
	global_load_dwordx4 v[15:18], v[15:16], off
	ds_write2_b64 v92, v[10:11], v[12:13] offset1:1
	ds_write_b128 v14, v[0:3] offset:6912
	v_lshl_add_u32 v27, v78, 4, v91
	ds_read_b128 v[0:3], v27
	ds_read_b128 v[10:13], v14 offset:6480
	v_mov_b32_e32 v85, v79
	v_mov_b32_e32 v28, s7
	;; [unrolled: 1-line block ×4, first 2 shown]
	s_waitcnt lgkmcnt(0)
	v_add_f64 v[19:20], v[0:1], -v[10:11]
	v_add_f64 v[21:22], v[2:3], v[12:13]
	v_add_f64 v[2:3], v[2:3], -v[12:13]
	v_add_f64 v[0:1], v[0:1], v[10:11]
	v_lshlrev_b64 v[8:9], 4, v[8:9]
	v_mul_f64 v[12:13], v[19:20], 0.5
	v_mul_f64 v[19:20], v[21:22], 0.5
	;; [unrolled: 1-line block ×3, first 2 shown]
	v_lshlrev_b64 v[21:22], 4, v[84:85]
	s_waitcnt vmcnt(1)
	v_mul_f64 v[10:11], v[12:13], v[6:7]
	v_fma_f64 v[23:24], v[19:20], v[6:7], v[2:3]
	v_fma_f64 v[6:7], v[19:20], v[6:7], -v[2:3]
	v_fma_f64 v[25:26], v[0:1], 0.5, v[10:11]
	v_fma_f64 v[10:11], v[0:1], 0.5, -v[10:11]
	v_add_co_u32_e32 v0, vcc, s6, v21
	v_addc_co_u32_e32 v1, vcc, v28, v22, vcc
	global_load_dwordx4 v[0:3], v[0:1], off
	v_fma_f64 v[21:22], -v[4:5], v[12:13], v[23:24]
	v_fma_f64 v[6:7], -v[4:5], v[12:13], v[6:7]
	v_fma_f64 v[12:13], v[19:20], v[4:5], v[25:26]
	v_fma_f64 v[4:5], -v[19:20], v[4:5], v[10:11]
	v_lshl_add_u32 v28, v86, 4, v91
	ds_write2_b64 v27, v[12:13], v[21:22] offset1:1
	ds_write_b128 v14, v[4:7] offset:6480
	ds_read_b128 v[4:7], v28
	ds_read_b128 v[10:13], v14 offset:6048
	v_mov_b32_e32 v27, s7
	s_waitcnt lgkmcnt(0)
	v_add_f64 v[19:20], v[4:5], -v[10:11]
	v_add_f64 v[21:22], v[6:7], v[12:13]
	v_add_f64 v[6:7], v[6:7], -v[12:13]
	v_add_f64 v[4:5], v[4:5], v[10:11]
	v_mul_f64 v[12:13], v[19:20], 0.5
	v_mul_f64 v[19:20], v[21:22], 0.5
	;; [unrolled: 1-line block ×3, first 2 shown]
	v_lshlrev_b64 v[21:22], 4, v[82:83]
	s_waitcnt vmcnt(1)
	v_mul_f64 v[10:11], v[12:13], v[17:18]
	v_fma_f64 v[23:24], v[19:20], v[17:18], v[6:7]
	v_fma_f64 v[17:18], v[19:20], v[17:18], -v[6:7]
	v_fma_f64 v[25:26], v[4:5], 0.5, v[10:11]
	v_fma_f64 v[10:11], v[4:5], 0.5, -v[10:11]
	v_add_co_u32_e32 v4, vcc, s6, v21
	v_addc_co_u32_e32 v5, vcc, v27, v22, vcc
	global_load_dwordx4 v[4:7], v[4:5], off
	v_fma_f64 v[21:22], -v[15:16], v[12:13], v[23:24]
	v_fma_f64 v[12:13], -v[15:16], v[12:13], v[17:18]
	v_fma_f64 v[17:18], v[19:20], v[15:16], v[25:26]
	v_fma_f64 v[10:11], -v[19:20], v[15:16], v[10:11]
	v_lshl_add_u32 v27, v84, 4, v91
	ds_write2_b64 v28, v[17:18], v[21:22] offset1:1
	ds_write_b128 v14, v[10:13] offset:6048
	ds_read_b128 v[10:13], v27
	ds_read_b128 v[15:18], v14 offset:5616
	v_mov_b32_e32 v28, s7
	s_waitcnt lgkmcnt(0)
	v_add_f64 v[19:20], v[10:11], -v[15:16]
	v_add_f64 v[21:22], v[12:13], v[17:18]
	v_add_f64 v[12:13], v[12:13], -v[17:18]
	v_add_f64 v[10:11], v[10:11], v[15:16]
	v_mul_f64 v[17:18], v[19:20], 0.5
	v_mul_f64 v[19:20], v[21:22], 0.5
	;; [unrolled: 1-line block ×3, first 2 shown]
	v_lshlrev_b64 v[21:22], 4, v[80:81]
	s_waitcnt vmcnt(1)
	v_mul_f64 v[15:16], v[17:18], v[2:3]
	v_fma_f64 v[23:24], v[19:20], v[2:3], v[12:13]
	v_fma_f64 v[2:3], v[19:20], v[2:3], -v[12:13]
	v_fma_f64 v[25:26], v[10:11], 0.5, v[15:16]
	v_fma_f64 v[15:16], v[10:11], 0.5, -v[15:16]
	v_add_co_u32_e32 v10, vcc, s6, v21
	v_addc_co_u32_e32 v11, vcc, v28, v22, vcc
	global_load_dwordx4 v[10:13], v[10:11], off
	v_fma_f64 v[21:22], -v[0:1], v[17:18], v[23:24]
	v_fma_f64 v[2:3], -v[0:1], v[17:18], v[2:3]
	v_fma_f64 v[17:18], v[19:20], v[0:1], v[25:26]
	v_fma_f64 v[0:1], -v[19:20], v[0:1], v[15:16]
	v_lshl_add_u32 v25, v82, 4, v91
	ds_write2_b64 v27, v[17:18], v[21:22] offset1:1
	ds_write_b128 v14, v[0:3] offset:5616
	ds_read_b128 v[0:3], v25
	ds_read_b128 v[15:18], v14 offset:5184
	v_mov_b32_e32 v26, s7
	v_add_co_u32_e32 v8, vcc, s6, v8
	v_addc_co_u32_e32 v9, vcc, v26, v9, vcc
	s_waitcnt lgkmcnt(0)
	v_add_f64 v[19:20], v[0:1], -v[15:16]
	v_add_f64 v[21:22], v[2:3], v[17:18]
	v_add_f64 v[2:3], v[2:3], -v[17:18]
	v_add_f64 v[0:1], v[0:1], v[15:16]
	v_lshl_add_u32 v26, v80, 4, v91
	v_mul_f64 v[17:18], v[19:20], 0.5
	v_mul_f64 v[19:20], v[21:22], 0.5
	;; [unrolled: 1-line block ×3, first 2 shown]
	s_waitcnt vmcnt(1)
	v_mul_f64 v[15:16], v[17:18], v[6:7]
	v_fma_f64 v[21:22], v[19:20], v[6:7], v[2:3]
	v_fma_f64 v[6:7], v[19:20], v[6:7], -v[2:3]
	v_fma_f64 v[23:24], v[0:1], 0.5, v[15:16]
	v_fma_f64 v[15:16], v[0:1], 0.5, -v[15:16]
	global_load_dwordx4 v[0:3], v[8:9], off offset:2592
	v_fma_f64 v[21:22], -v[4:5], v[17:18], v[21:22]
	v_fma_f64 v[6:7], -v[4:5], v[17:18], v[6:7]
	v_fma_f64 v[17:18], v[19:20], v[4:5], v[23:24]
	v_fma_f64 v[4:5], -v[19:20], v[4:5], v[15:16]
	ds_write2_b64 v25, v[17:18], v[21:22] offset1:1
	ds_write_b128 v14, v[4:7] offset:5184
	ds_read_b128 v[4:7], v26
	ds_read_b128 v[15:18], v14 offset:4752
	s_waitcnt lgkmcnt(0)
	v_add_f64 v[19:20], v[4:5], -v[15:16]
	v_add_f64 v[21:22], v[6:7], v[17:18]
	v_add_f64 v[6:7], v[6:7], -v[17:18]
	v_add_f64 v[4:5], v[4:5], v[15:16]
	v_mul_f64 v[17:18], v[19:20], 0.5
	v_mul_f64 v[19:20], v[21:22], 0.5
	;; [unrolled: 1-line block ×3, first 2 shown]
	s_waitcnt vmcnt(1)
	v_mul_f64 v[15:16], v[17:18], v[12:13]
	v_fma_f64 v[21:22], v[19:20], v[12:13], v[6:7]
	v_fma_f64 v[12:13], v[19:20], v[12:13], -v[6:7]
	v_fma_f64 v[23:24], v[4:5], 0.5, v[15:16]
	v_fma_f64 v[15:16], v[4:5], 0.5, -v[15:16]
	global_load_dwordx4 v[4:7], v[8:9], off offset:3024
	v_fma_f64 v[8:9], -v[10:11], v[17:18], v[21:22]
	v_fma_f64 v[12:13], -v[10:11], v[17:18], v[12:13]
	v_fma_f64 v[17:18], v[19:20], v[10:11], v[23:24]
	v_fma_f64 v[10:11], -v[19:20], v[10:11], v[15:16]
	ds_write2_b64 v26, v[17:18], v[8:9] offset1:1
	ds_write_b128 v14, v[10:13] offset:4752
	ds_read_b128 v[8:11], v92 offset:2592
	ds_read_b128 v[15:18], v14 offset:4320
	s_waitcnt lgkmcnt(0)
	v_add_f64 v[12:13], v[8:9], -v[15:16]
	v_add_f64 v[19:20], v[10:11], v[17:18]
	v_add_f64 v[10:11], v[10:11], -v[17:18]
	v_add_f64 v[8:9], v[8:9], v[15:16]
	v_mul_f64 v[12:13], v[12:13], 0.5
	v_mul_f64 v[17:18], v[19:20], 0.5
	;; [unrolled: 1-line block ×3, first 2 shown]
	s_waitcnt vmcnt(1)
	v_mul_f64 v[15:16], v[12:13], v[2:3]
	v_fma_f64 v[19:20], v[17:18], v[2:3], v[10:11]
	v_fma_f64 v[2:3], v[17:18], v[2:3], -v[10:11]
	v_fma_f64 v[10:11], v[8:9], 0.5, v[15:16]
	v_fma_f64 v[8:9], v[8:9], 0.5, -v[15:16]
	v_fma_f64 v[15:16], -v[0:1], v[12:13], v[19:20]
	v_fma_f64 v[2:3], -v[0:1], v[12:13], v[2:3]
	v_fma_f64 v[10:11], v[17:18], v[0:1], v[10:11]
	v_fma_f64 v[0:1], -v[17:18], v[0:1], v[8:9]
	v_add_u32_e32 v17, 0x800, v92
	ds_write2_b64 v17, v[10:11], v[15:16] offset0:68 offset1:69
	ds_write_b128 v14, v[0:3] offset:4320
	ds_read_b128 v[0:3], v92 offset:3024
	ds_read_b128 v[8:11], v14 offset:3888
	s_waitcnt lgkmcnt(0)
	v_add_f64 v[12:13], v[0:1], -v[8:9]
	v_add_f64 v[15:16], v[2:3], v[10:11]
	v_add_f64 v[2:3], v[2:3], -v[10:11]
	v_add_f64 v[0:1], v[0:1], v[8:9]
	v_mul_f64 v[10:11], v[12:13], 0.5
	v_mul_f64 v[12:13], v[15:16], 0.5
	;; [unrolled: 1-line block ×3, first 2 shown]
	s_waitcnt vmcnt(0)
	v_mul_f64 v[8:9], v[10:11], v[6:7]
	v_fma_f64 v[15:16], v[12:13], v[6:7], v[2:3]
	v_fma_f64 v[2:3], v[12:13], v[6:7], -v[2:3]
	v_fma_f64 v[6:7], v[0:1], 0.5, v[8:9]
	v_fma_f64 v[0:1], v[0:1], 0.5, -v[8:9]
	v_fma_f64 v[8:9], -v[4:5], v[10:11], v[15:16]
	v_fma_f64 v[2:3], -v[4:5], v[10:11], v[2:3]
	v_fma_f64 v[6:7], v[12:13], v[4:5], v[6:7]
	v_fma_f64 v[0:1], -v[12:13], v[4:5], v[0:1]
	ds_write2_b64 v17, v[6:7], v[8:9] offset0:122 offset1:123
	ds_write_b128 v14, v[0:3] offset:3888
	s_waitcnt lgkmcnt(0)
	; wave barrier
	s_waitcnt lgkmcnt(0)
	s_and_saveexec_b64 s[2:3], s[0:1]
	s_cbranch_execz .LBB0_30
; %bb.28:
	v_mul_lo_u32 v0, s5, v76
	v_mul_lo_u32 v3, s4, v77
	v_mad_u64_u32 v[1:2], s[0:1], s4, v76, 0
	v_mov_b32_e32 v7, s11
	v_mov_b32_e32 v75, v79
	v_add3_u32 v2, v2, v3, v0
	v_lshlrev_b64 v[1:2], 4, v[1:2]
	v_lshl_add_u32 v0, v74, 4, v91
	v_add_co_u32_e32 v1, vcc, s10, v1
	v_addc_co_u32_e32 v9, vcc, v7, v2, vcc
	v_lshlrev_b64 v[7:8], 4, v[72:73]
	ds_read_b128 v[3:6], v0
	v_add_co_u32_e32 v2, vcc, v1, v7
	v_addc_co_u32_e32 v1, vcc, v9, v8, vcc
	v_lshlrev_b64 v[7:8], 4, v[74:75]
	v_add_u32_e32 v78, 27, v74
	v_add_co_u32_e32 v11, vcc, v2, v7
	v_addc_co_u32_e32 v12, vcc, v1, v8, vcc
	ds_read_b128 v[7:10], v0 offset:432
	s_waitcnt lgkmcnt(1)
	global_store_dwordx4 v[11:12], v[3:6], off
	s_nop 0
	v_lshlrev_b64 v[3:4], 4, v[78:79]
	v_add_u32_e32 v78, 54, v74
	v_add_co_u32_e32 v3, vcc, v2, v3
	v_addc_co_u32_e32 v4, vcc, v1, v4, vcc
	s_waitcnt lgkmcnt(0)
	global_store_dwordx4 v[3:4], v[7:10], off
	ds_read_b128 v[3:6], v0 offset:864
	v_lshlrev_b64 v[7:8], 4, v[78:79]
	v_add_u32_e32 v78, 0x51, v74
	v_add_co_u32_e32 v11, vcc, v2, v7
	v_addc_co_u32_e32 v12, vcc, v1, v8, vcc
	ds_read_b128 v[7:10], v0 offset:1296
	s_waitcnt lgkmcnt(1)
	global_store_dwordx4 v[11:12], v[3:6], off
	s_nop 0
	v_lshlrev_b64 v[3:4], 4, v[78:79]
	v_add_u32_e32 v78, 0x6c, v74
	v_add_co_u32_e32 v3, vcc, v2, v3
	v_addc_co_u32_e32 v4, vcc, v1, v4, vcc
	s_waitcnt lgkmcnt(0)
	global_store_dwordx4 v[3:4], v[7:10], off
	ds_read_b128 v[3:6], v0 offset:1728
	;; [unrolled: 15-line block ×7, first 2 shown]
	v_lshlrev_b64 v[7:8], 4, v[78:79]
	v_add_u32_e32 v78, 0x195, v74
	v_add_co_u32_e32 v11, vcc, v2, v7
	v_addc_co_u32_e32 v12, vcc, v1, v8, vcc
	ds_read_b128 v[7:10], v0 offset:6480
	s_waitcnt lgkmcnt(1)
	global_store_dwordx4 v[11:12], v[3:6], off
	s_nop 0
	v_lshlrev_b64 v[3:4], 4, v[78:79]
	v_add_co_u32_e32 v3, vcc, v2, v3
	v_addc_co_u32_e32 v4, vcc, v1, v4, vcc
	v_cmp_eq_u32_e32 vcc, 26, v74
	s_waitcnt lgkmcnt(0)
	global_store_dwordx4 v[3:4], v[7:10], off
	s_and_b64 exec, exec, vcc
	s_cbranch_execz .LBB0_30
; %bb.29:
	ds_read_b128 v[3:6], v0 offset:6496
	v_add_co_u32_e32 v0, vcc, 0x1000, v2
	v_addc_co_u32_e32 v1, vcc, 0, v1, vcc
	s_waitcnt lgkmcnt(0)
	global_store_dwordx4 v[0:1], v[3:6], off offset:2816
.LBB0_30:
	s_endpgm
	.section	.rodata,"a",@progbits
	.p2align	6, 0x0
	.amdhsa_kernel fft_rtc_back_len432_factors_3_16_3_3_wgs_54_tpt_27_halfLds_dp_op_CI_CI_unitstride_sbrr_R2C_dirReg
		.amdhsa_group_segment_fixed_size 0
		.amdhsa_private_segment_fixed_size 0
		.amdhsa_kernarg_size 104
		.amdhsa_user_sgpr_count 6
		.amdhsa_user_sgpr_private_segment_buffer 1
		.amdhsa_user_sgpr_dispatch_ptr 0
		.amdhsa_user_sgpr_queue_ptr 0
		.amdhsa_user_sgpr_kernarg_segment_ptr 1
		.amdhsa_user_sgpr_dispatch_id 0
		.amdhsa_user_sgpr_flat_scratch_init 0
		.amdhsa_user_sgpr_private_segment_size 0
		.amdhsa_uses_dynamic_stack 0
		.amdhsa_system_sgpr_private_segment_wavefront_offset 0
		.amdhsa_system_sgpr_workgroup_id_x 1
		.amdhsa_system_sgpr_workgroup_id_y 0
		.amdhsa_system_sgpr_workgroup_id_z 0
		.amdhsa_system_sgpr_workgroup_info 0
		.amdhsa_system_vgpr_workitem_id 0
		.amdhsa_next_free_vgpr 121
		.amdhsa_next_free_sgpr 28
		.amdhsa_reserve_vcc 1
		.amdhsa_reserve_flat_scratch 0
		.amdhsa_float_round_mode_32 0
		.amdhsa_float_round_mode_16_64 0
		.amdhsa_float_denorm_mode_32 3
		.amdhsa_float_denorm_mode_16_64 3
		.amdhsa_dx10_clamp 1
		.amdhsa_ieee_mode 1
		.amdhsa_fp16_overflow 0
		.amdhsa_exception_fp_ieee_invalid_op 0
		.amdhsa_exception_fp_denorm_src 0
		.amdhsa_exception_fp_ieee_div_zero 0
		.amdhsa_exception_fp_ieee_overflow 0
		.amdhsa_exception_fp_ieee_underflow 0
		.amdhsa_exception_fp_ieee_inexact 0
		.amdhsa_exception_int_div_zero 0
	.end_amdhsa_kernel
	.text
.Lfunc_end0:
	.size	fft_rtc_back_len432_factors_3_16_3_3_wgs_54_tpt_27_halfLds_dp_op_CI_CI_unitstride_sbrr_R2C_dirReg, .Lfunc_end0-fft_rtc_back_len432_factors_3_16_3_3_wgs_54_tpt_27_halfLds_dp_op_CI_CI_unitstride_sbrr_R2C_dirReg
                                        ; -- End function
	.section	.AMDGPU.csdata,"",@progbits
; Kernel info:
; codeLenInByte = 11352
; NumSgprs: 32
; NumVgprs: 121
; ScratchSize: 0
; MemoryBound: 0
; FloatMode: 240
; IeeeMode: 1
; LDSByteSize: 0 bytes/workgroup (compile time only)
; SGPRBlocks: 3
; VGPRBlocks: 30
; NumSGPRsForWavesPerEU: 32
; NumVGPRsForWavesPerEU: 121
; Occupancy: 2
; WaveLimiterHint : 1
; COMPUTE_PGM_RSRC2:SCRATCH_EN: 0
; COMPUTE_PGM_RSRC2:USER_SGPR: 6
; COMPUTE_PGM_RSRC2:TRAP_HANDLER: 0
; COMPUTE_PGM_RSRC2:TGID_X_EN: 1
; COMPUTE_PGM_RSRC2:TGID_Y_EN: 0
; COMPUTE_PGM_RSRC2:TGID_Z_EN: 0
; COMPUTE_PGM_RSRC2:TIDIG_COMP_CNT: 0
	.type	__hip_cuid_ad60d36806b3162b,@object ; @__hip_cuid_ad60d36806b3162b
	.section	.bss,"aw",@nobits
	.globl	__hip_cuid_ad60d36806b3162b
__hip_cuid_ad60d36806b3162b:
	.byte	0                               ; 0x0
	.size	__hip_cuid_ad60d36806b3162b, 1

	.ident	"AMD clang version 19.0.0git (https://github.com/RadeonOpenCompute/llvm-project roc-6.4.0 25133 c7fe45cf4b819c5991fe208aaa96edf142730f1d)"
	.section	".note.GNU-stack","",@progbits
	.addrsig
	.addrsig_sym __hip_cuid_ad60d36806b3162b
	.amdgpu_metadata
---
amdhsa.kernels:
  - .args:
      - .actual_access:  read_only
        .address_space:  global
        .offset:         0
        .size:           8
        .value_kind:     global_buffer
      - .offset:         8
        .size:           8
        .value_kind:     by_value
      - .actual_access:  read_only
        .address_space:  global
        .offset:         16
        .size:           8
        .value_kind:     global_buffer
      - .actual_access:  read_only
        .address_space:  global
        .offset:         24
        .size:           8
        .value_kind:     global_buffer
      - .actual_access:  read_only
        .address_space:  global
        .offset:         32
        .size:           8
        .value_kind:     global_buffer
      - .offset:         40
        .size:           8
        .value_kind:     by_value
      - .actual_access:  read_only
        .address_space:  global
        .offset:         48
        .size:           8
        .value_kind:     global_buffer
      - .actual_access:  read_only
        .address_space:  global
        .offset:         56
        .size:           8
        .value_kind:     global_buffer
      - .offset:         64
        .size:           4
        .value_kind:     by_value
      - .actual_access:  read_only
        .address_space:  global
        .offset:         72
        .size:           8
        .value_kind:     global_buffer
      - .actual_access:  read_only
        .address_space:  global
        .offset:         80
        .size:           8
        .value_kind:     global_buffer
      - .actual_access:  read_only
        .address_space:  global
        .offset:         88
        .size:           8
        .value_kind:     global_buffer
      - .actual_access:  write_only
        .address_space:  global
        .offset:         96
        .size:           8
        .value_kind:     global_buffer
    .group_segment_fixed_size: 0
    .kernarg_segment_align: 8
    .kernarg_segment_size: 104
    .language:       OpenCL C
    .language_version:
      - 2
      - 0
    .max_flat_workgroup_size: 54
    .name:           fft_rtc_back_len432_factors_3_16_3_3_wgs_54_tpt_27_halfLds_dp_op_CI_CI_unitstride_sbrr_R2C_dirReg
    .private_segment_fixed_size: 0
    .sgpr_count:     32
    .sgpr_spill_count: 0
    .symbol:         fft_rtc_back_len432_factors_3_16_3_3_wgs_54_tpt_27_halfLds_dp_op_CI_CI_unitstride_sbrr_R2C_dirReg.kd
    .uniform_work_group_size: 1
    .uses_dynamic_stack: false
    .vgpr_count:     121
    .vgpr_spill_count: 0
    .wavefront_size: 64
amdhsa.target:   amdgcn-amd-amdhsa--gfx906
amdhsa.version:
  - 1
  - 2
...

	.end_amdgpu_metadata
